;; amdgpu-corpus repo=ROCm/rocFFT kind=compiled arch=gfx1201 opt=O3
	.text
	.amdgcn_target "amdgcn-amd-amdhsa--gfx1201"
	.amdhsa_code_object_version 6
	.protected	fft_rtc_back_len1485_factors_3_5_11_3_3_wgs_165_tpt_165_sp_ip_CI_unitstride_sbrr_dirReg ; -- Begin function fft_rtc_back_len1485_factors_3_5_11_3_3_wgs_165_tpt_165_sp_ip_CI_unitstride_sbrr_dirReg
	.globl	fft_rtc_back_len1485_factors_3_5_11_3_3_wgs_165_tpt_165_sp_ip_CI_unitstride_sbrr_dirReg
	.p2align	8
	.type	fft_rtc_back_len1485_factors_3_5_11_3_3_wgs_165_tpt_165_sp_ip_CI_unitstride_sbrr_dirReg,@function
fft_rtc_back_len1485_factors_3_5_11_3_3_wgs_165_tpt_165_sp_ip_CI_unitstride_sbrr_dirReg: ; @fft_rtc_back_len1485_factors_3_5_11_3_3_wgs_165_tpt_165_sp_ip_CI_unitstride_sbrr_dirReg
; %bb.0:
	s_clause 0x2
	s_load_b128 s[4:7], s[0:1], 0x0
	s_load_b64 s[8:9], s[0:1], 0x50
	s_load_b64 s[10:11], s[0:1], 0x18
	v_mul_u32_u24_e32 v1, 0x18e, v0
	v_mov_b32_e32 v3, 0
	s_delay_alu instid0(VALU_DEP_2) | instskip(NEXT) | instid1(VALU_DEP_1)
	v_lshrrev_b32_e32 v1, 16, v1
	v_add_nc_u32_e32 v5, ttmp9, v1
	v_mov_b32_e32 v1, 0
	v_mov_b32_e32 v2, 0
	;; [unrolled: 1-line block ×3, first 2 shown]
	s_wait_kmcnt 0x0
	v_cmp_lt_u64_e64 s2, s[6:7], 2
	s_delay_alu instid0(VALU_DEP_1)
	s_and_b32 vcc_lo, exec_lo, s2
	s_cbranch_vccnz .LBB0_8
; %bb.1:
	s_load_b64 s[2:3], s[0:1], 0x10
	v_mov_b32_e32 v1, 0
	v_mov_b32_e32 v2, 0
	s_add_nc_u64 s[12:13], s[10:11], 8
	s_mov_b64 s[14:15], 1
	s_wait_kmcnt 0x0
	s_add_nc_u64 s[16:17], s[2:3], 8
	s_mov_b32 s3, 0
.LBB0_2:                                ; =>This Inner Loop Header: Depth=1
	s_load_b64 s[18:19], s[16:17], 0x0
                                        ; implicit-def: $vgpr7_vgpr8
	s_mov_b32 s2, exec_lo
	s_wait_kmcnt 0x0
	v_or_b32_e32 v4, s19, v6
	s_delay_alu instid0(VALU_DEP_1)
	v_cmpx_ne_u64_e32 0, v[3:4]
	s_wait_alu 0xfffe
	s_xor_b32 s20, exec_lo, s2
	s_cbranch_execz .LBB0_4
; %bb.3:                                ;   in Loop: Header=BB0_2 Depth=1
	s_cvt_f32_u32 s2, s18
	s_cvt_f32_u32 s21, s19
	s_sub_nc_u64 s[24:25], 0, s[18:19]
	s_wait_alu 0xfffe
	s_delay_alu instid0(SALU_CYCLE_1) | instskip(SKIP_1) | instid1(SALU_CYCLE_2)
	s_fmamk_f32 s2, s21, 0x4f800000, s2
	s_wait_alu 0xfffe
	v_s_rcp_f32 s2, s2
	s_delay_alu instid0(TRANS32_DEP_1) | instskip(SKIP_1) | instid1(SALU_CYCLE_2)
	s_mul_f32 s2, s2, 0x5f7ffffc
	s_wait_alu 0xfffe
	s_mul_f32 s21, s2, 0x2f800000
	s_wait_alu 0xfffe
	s_delay_alu instid0(SALU_CYCLE_2) | instskip(SKIP_1) | instid1(SALU_CYCLE_2)
	s_trunc_f32 s21, s21
	s_wait_alu 0xfffe
	s_fmamk_f32 s2, s21, 0xcf800000, s2
	s_cvt_u32_f32 s23, s21
	s_wait_alu 0xfffe
	s_delay_alu instid0(SALU_CYCLE_1) | instskip(SKIP_1) | instid1(SALU_CYCLE_2)
	s_cvt_u32_f32 s22, s2
	s_wait_alu 0xfffe
	s_mul_u64 s[26:27], s[24:25], s[22:23]
	s_wait_alu 0xfffe
	s_mul_hi_u32 s29, s22, s27
	s_mul_i32 s28, s22, s27
	s_mul_hi_u32 s2, s22, s26
	s_mul_i32 s30, s23, s26
	s_wait_alu 0xfffe
	s_add_nc_u64 s[28:29], s[2:3], s[28:29]
	s_mul_hi_u32 s21, s23, s26
	s_mul_hi_u32 s31, s23, s27
	s_add_co_u32 s2, s28, s30
	s_wait_alu 0xfffe
	s_add_co_ci_u32 s2, s29, s21
	s_mul_i32 s26, s23, s27
	s_add_co_ci_u32 s27, s31, 0
	s_wait_alu 0xfffe
	s_add_nc_u64 s[26:27], s[2:3], s[26:27]
	s_wait_alu 0xfffe
	v_add_co_u32 v4, s2, s22, s26
	s_delay_alu instid0(VALU_DEP_1) | instskip(SKIP_1) | instid1(VALU_DEP_1)
	s_cmp_lg_u32 s2, 0
	s_add_co_ci_u32 s23, s23, s27
	v_readfirstlane_b32 s22, v4
	s_wait_alu 0xfffe
	s_delay_alu instid0(VALU_DEP_1)
	s_mul_u64 s[24:25], s[24:25], s[22:23]
	s_wait_alu 0xfffe
	s_mul_hi_u32 s27, s22, s25
	s_mul_i32 s26, s22, s25
	s_mul_hi_u32 s2, s22, s24
	s_mul_i32 s28, s23, s24
	s_wait_alu 0xfffe
	s_add_nc_u64 s[26:27], s[2:3], s[26:27]
	s_mul_hi_u32 s21, s23, s24
	s_mul_hi_u32 s22, s23, s25
	s_wait_alu 0xfffe
	s_add_co_u32 s2, s26, s28
	s_add_co_ci_u32 s2, s27, s21
	s_mul_i32 s24, s23, s25
	s_add_co_ci_u32 s25, s22, 0
	s_wait_alu 0xfffe
	s_add_nc_u64 s[24:25], s[2:3], s[24:25]
	s_wait_alu 0xfffe
	v_add_co_u32 v4, s2, v4, s24
	s_delay_alu instid0(VALU_DEP_1) | instskip(SKIP_1) | instid1(VALU_DEP_1)
	s_cmp_lg_u32 s2, 0
	s_add_co_ci_u32 s2, s23, s25
	v_mul_hi_u32 v13, v5, v4
	s_wait_alu 0xfffe
	v_mad_co_u64_u32 v[7:8], null, v5, s2, 0
	v_mad_co_u64_u32 v[9:10], null, v6, v4, 0
	;; [unrolled: 1-line block ×3, first 2 shown]
	s_delay_alu instid0(VALU_DEP_3) | instskip(SKIP_1) | instid1(VALU_DEP_4)
	v_add_co_u32 v4, vcc_lo, v13, v7
	s_wait_alu 0xfffd
	v_add_co_ci_u32_e32 v7, vcc_lo, 0, v8, vcc_lo
	s_delay_alu instid0(VALU_DEP_2) | instskip(SKIP_1) | instid1(VALU_DEP_2)
	v_add_co_u32 v4, vcc_lo, v4, v9
	s_wait_alu 0xfffd
	v_add_co_ci_u32_e32 v4, vcc_lo, v7, v10, vcc_lo
	s_wait_alu 0xfffd
	v_add_co_ci_u32_e32 v7, vcc_lo, 0, v12, vcc_lo
	s_delay_alu instid0(VALU_DEP_2) | instskip(SKIP_1) | instid1(VALU_DEP_2)
	v_add_co_u32 v4, vcc_lo, v4, v11
	s_wait_alu 0xfffd
	v_add_co_ci_u32_e32 v9, vcc_lo, 0, v7, vcc_lo
	s_delay_alu instid0(VALU_DEP_2) | instskip(SKIP_1) | instid1(VALU_DEP_3)
	v_mul_lo_u32 v10, s19, v4
	v_mad_co_u64_u32 v[7:8], null, s18, v4, 0
	v_mul_lo_u32 v11, s18, v9
	s_delay_alu instid0(VALU_DEP_2) | instskip(NEXT) | instid1(VALU_DEP_2)
	v_sub_co_u32 v7, vcc_lo, v5, v7
	v_add3_u32 v8, v8, v11, v10
	s_delay_alu instid0(VALU_DEP_1) | instskip(SKIP_1) | instid1(VALU_DEP_1)
	v_sub_nc_u32_e32 v10, v6, v8
	s_wait_alu 0xfffd
	v_subrev_co_ci_u32_e64 v10, s2, s19, v10, vcc_lo
	v_add_co_u32 v11, s2, v4, 2
	s_wait_alu 0xf1ff
	v_add_co_ci_u32_e64 v12, s2, 0, v9, s2
	v_sub_co_u32 v13, s2, v7, s18
	v_sub_co_ci_u32_e32 v8, vcc_lo, v6, v8, vcc_lo
	s_wait_alu 0xf1ff
	v_subrev_co_ci_u32_e64 v10, s2, 0, v10, s2
	s_delay_alu instid0(VALU_DEP_3) | instskip(NEXT) | instid1(VALU_DEP_3)
	v_cmp_le_u32_e32 vcc_lo, s18, v13
	v_cmp_eq_u32_e64 s2, s19, v8
	s_wait_alu 0xfffd
	v_cndmask_b32_e64 v13, 0, -1, vcc_lo
	v_cmp_le_u32_e32 vcc_lo, s19, v10
	s_wait_alu 0xfffd
	v_cndmask_b32_e64 v14, 0, -1, vcc_lo
	v_cmp_le_u32_e32 vcc_lo, s18, v7
	;; [unrolled: 3-line block ×3, first 2 shown]
	s_wait_alu 0xfffd
	v_cndmask_b32_e64 v15, 0, -1, vcc_lo
	v_cmp_eq_u32_e32 vcc_lo, s19, v10
	s_wait_alu 0xf1ff
	s_delay_alu instid0(VALU_DEP_2)
	v_cndmask_b32_e64 v7, v15, v7, s2
	s_wait_alu 0xfffd
	v_cndmask_b32_e32 v10, v14, v13, vcc_lo
	v_add_co_u32 v13, vcc_lo, v4, 1
	s_wait_alu 0xfffd
	v_add_co_ci_u32_e32 v14, vcc_lo, 0, v9, vcc_lo
	s_delay_alu instid0(VALU_DEP_3) | instskip(SKIP_2) | instid1(VALU_DEP_3)
	v_cmp_ne_u32_e32 vcc_lo, 0, v10
	s_wait_alu 0xfffd
	v_cndmask_b32_e32 v10, v13, v11, vcc_lo
	v_cndmask_b32_e32 v8, v14, v12, vcc_lo
	v_cmp_ne_u32_e32 vcc_lo, 0, v7
	s_wait_alu 0xfffd
	s_delay_alu instid0(VALU_DEP_2)
	v_dual_cndmask_b32 v7, v4, v10 :: v_dual_cndmask_b32 v8, v9, v8
.LBB0_4:                                ;   in Loop: Header=BB0_2 Depth=1
	s_wait_alu 0xfffe
	s_and_not1_saveexec_b32 s2, s20
	s_cbranch_execz .LBB0_6
; %bb.5:                                ;   in Loop: Header=BB0_2 Depth=1
	v_cvt_f32_u32_e32 v4, s18
	s_sub_co_i32 s20, 0, s18
	s_delay_alu instid0(VALU_DEP_1) | instskip(NEXT) | instid1(TRANS32_DEP_1)
	v_rcp_iflag_f32_e32 v4, v4
	v_mul_f32_e32 v4, 0x4f7ffffe, v4
	s_delay_alu instid0(VALU_DEP_1) | instskip(SKIP_1) | instid1(VALU_DEP_1)
	v_cvt_u32_f32_e32 v4, v4
	s_wait_alu 0xfffe
	v_mul_lo_u32 v7, s20, v4
	s_delay_alu instid0(VALU_DEP_1) | instskip(NEXT) | instid1(VALU_DEP_1)
	v_mul_hi_u32 v7, v4, v7
	v_add_nc_u32_e32 v4, v4, v7
	s_delay_alu instid0(VALU_DEP_1) | instskip(NEXT) | instid1(VALU_DEP_1)
	v_mul_hi_u32 v4, v5, v4
	v_mul_lo_u32 v7, v4, s18
	v_add_nc_u32_e32 v8, 1, v4
	s_delay_alu instid0(VALU_DEP_2) | instskip(NEXT) | instid1(VALU_DEP_1)
	v_sub_nc_u32_e32 v7, v5, v7
	v_subrev_nc_u32_e32 v9, s18, v7
	v_cmp_le_u32_e32 vcc_lo, s18, v7
	s_wait_alu 0xfffd
	s_delay_alu instid0(VALU_DEP_2) | instskip(NEXT) | instid1(VALU_DEP_1)
	v_dual_cndmask_b32 v7, v7, v9 :: v_dual_cndmask_b32 v4, v4, v8
	v_cmp_le_u32_e32 vcc_lo, s18, v7
	s_delay_alu instid0(VALU_DEP_2) | instskip(SKIP_1) | instid1(VALU_DEP_1)
	v_add_nc_u32_e32 v8, 1, v4
	s_wait_alu 0xfffd
	v_dual_cndmask_b32 v7, v4, v8 :: v_dual_mov_b32 v8, v3
.LBB0_6:                                ;   in Loop: Header=BB0_2 Depth=1
	s_wait_alu 0xfffe
	s_or_b32 exec_lo, exec_lo, s2
	s_load_b64 s[20:21], s[12:13], 0x0
	s_delay_alu instid0(VALU_DEP_1)
	v_mul_lo_u32 v4, v8, s18
	v_mul_lo_u32 v11, v7, s19
	v_mad_co_u64_u32 v[9:10], null, v7, s18, 0
	s_add_nc_u64 s[14:15], s[14:15], 1
	s_add_nc_u64 s[12:13], s[12:13], 8
	s_wait_alu 0xfffe
	v_cmp_ge_u64_e64 s2, s[14:15], s[6:7]
	s_add_nc_u64 s[16:17], s[16:17], 8
	s_delay_alu instid0(VALU_DEP_2) | instskip(NEXT) | instid1(VALU_DEP_3)
	v_add3_u32 v4, v10, v11, v4
	v_sub_co_u32 v5, vcc_lo, v5, v9
	s_wait_alu 0xfffd
	s_delay_alu instid0(VALU_DEP_2) | instskip(SKIP_3) | instid1(VALU_DEP_2)
	v_sub_co_ci_u32_e32 v4, vcc_lo, v6, v4, vcc_lo
	s_and_b32 vcc_lo, exec_lo, s2
	s_wait_kmcnt 0x0
	v_mul_lo_u32 v6, s21, v5
	v_mul_lo_u32 v4, s20, v4
	v_mad_co_u64_u32 v[1:2], null, s20, v5, v[1:2]
	s_delay_alu instid0(VALU_DEP_1)
	v_add3_u32 v2, v6, v2, v4
	s_wait_alu 0xfffe
	s_cbranch_vccnz .LBB0_9
; %bb.7:                                ;   in Loop: Header=BB0_2 Depth=1
	v_dual_mov_b32 v5, v7 :: v_dual_mov_b32 v6, v8
	s_branch .LBB0_2
.LBB0_8:
	v_dual_mov_b32 v8, v6 :: v_dual_mov_b32 v7, v5
.LBB0_9:
	s_lshl_b64 s[2:3], s[6:7], 3
	v_mul_hi_u32 v5, 0x18d3019, v0
	s_wait_alu 0xfffe
	s_add_nc_u64 s[2:3], s[10:11], s[2:3]
                                        ; implicit-def: $vgpr9
                                        ; implicit-def: $vgpr15
                                        ; implicit-def: $vgpr17
                                        ; implicit-def: $vgpr13
                                        ; implicit-def: $vgpr11
	s_load_b64 s[2:3], s[2:3], 0x0
	s_load_b64 s[0:1], s[0:1], 0x20
	s_wait_kmcnt 0x0
	v_mul_lo_u32 v3, s2, v8
	v_mul_lo_u32 v4, s3, v7
	v_mad_co_u64_u32 v[1:2], null, s2, v7, v[1:2]
	v_cmp_gt_u64_e32 vcc_lo, s[0:1], v[7:8]
                                        ; implicit-def: $vgpr7
	s_delay_alu instid0(VALU_DEP_2) | instskip(SKIP_1) | instid1(VALU_DEP_2)
	v_add3_u32 v2, v4, v2, v3
	v_mul_u32_u24_e32 v3, 0xa5, v5
                                        ; implicit-def: $vgpr5
	v_lshlrev_b64_e32 v[20:21], 3, v[1:2]
	s_delay_alu instid0(VALU_DEP_2)
	v_sub_nc_u32_e32 v22, v0, v3
                                        ; implicit-def: $vgpr1
                                        ; implicit-def: $vgpr3
	s_and_saveexec_b32 s1, vcc_lo
; %bb.10:
	v_mov_b32_e32 v23, 0
	s_delay_alu instid0(VALU_DEP_3) | instskip(SKIP_2) | instid1(VALU_DEP_3)
	v_add_co_u32 v2, s0, s8, v20
	s_wait_alu 0xf1ff
	v_add_co_ci_u32_e64 v3, s0, s9, v21, s0
	v_lshlrev_b64_e32 v[0:1], 3, v[22:23]
	s_delay_alu instid0(VALU_DEP_1) | instskip(SKIP_1) | instid1(VALU_DEP_2)
	v_add_co_u32 v6, s0, v2, v0
	s_wait_alu 0xf1ff
	v_add_co_ci_u32_e64 v7, s0, v3, v1, s0
	s_clause 0x8
	global_load_b64 v[8:9], v[6:7], off
	global_load_b64 v[0:1], v[6:7], off offset:1320
	global_load_b64 v[4:5], v[6:7], off offset:5280
	;; [unrolled: 1-line block ×8, first 2 shown]
; %bb.11:
	s_wait_alu 0xfffe
	s_or_b32 exec_lo, exec_lo, s1
	s_wait_loadcnt 0x2
	v_dual_add_f32 v18, v14, v16 :: v_dual_add_f32 v19, v8, v14
	v_sub_f32_e32 v23, v15, v17
	v_dual_add_f32 v24, v15, v17 :: v_dual_add_f32 v15, v9, v15
	s_delay_alu instid0(VALU_DEP_3) | instskip(SKIP_2) | instid1(VALU_DEP_4)
	v_fmac_f32_e32 v8, -0.5, v18
	v_sub_f32_e32 v18, v14, v16
	v_cmp_gt_u32_e64 s0, 0x84, v22
	v_fmac_f32_e32 v9, -0.5, v24
	v_add_f32_e32 v14, v19, v16
	v_fmamk_f32 v16, v23, 0xbf5db3d7, v8
	v_dual_fmac_f32 v8, 0x3f5db3d7, v23 :: v_dual_add_f32 v19, v4, v12
	v_add_f32_e32 v15, v15, v17
	v_fmamk_f32 v17, v18, 0x3f5db3d7, v9
	v_dual_add_f32 v23, v0, v4 :: v_dual_add_f32 v24, v5, v13
	s_delay_alu instid0(VALU_DEP_4) | instskip(NEXT) | instid1(VALU_DEP_2)
	v_dual_fmac_f32 v9, 0xbf5db3d7, v18 :: v_dual_fmac_f32 v0, -0.5, v19
	v_dual_sub_f32 v19, v5, v13 :: v_dual_add_f32 v18, v23, v12
	v_dual_add_f32 v5, v1, v5 :: v_dual_sub_f32 v4, v4, v12
	s_delay_alu instid0(VALU_DEP_2) | instskip(NEXT) | instid1(VALU_DEP_2)
	v_dual_fmac_f32 v1, -0.5, v24 :: v_dual_fmamk_f32 v12, v19, 0xbf5db3d7, v0
	v_dual_fmac_f32 v0, 0x3f5db3d7, v19 :: v_dual_add_f32 v19, v5, v13
	s_wait_loadcnt 0x0
	v_dual_add_f32 v5, v6, v10 :: v_dual_add_f32 v24, v7, v11
	s_delay_alu instid0(VALU_DEP_3) | instskip(SKIP_2) | instid1(VALU_DEP_4)
	v_fmamk_f32 v13, v4, 0x3f5db3d7, v1
	v_add_f32_e32 v23, v10, v2
	v_sub_f32_e32 v10, v10, v6
	v_dual_fmac_f32 v2, -0.5, v5 :: v_dual_sub_f32 v5, v11, v7
	v_add_f32_e32 v11, v11, v3
	s_delay_alu instid0(VALU_DEP_4) | instskip(SKIP_1) | instid1(VALU_DEP_4)
	v_dual_fmac_f32 v1, 0xbf5db3d7, v4 :: v_dual_add_f32 v4, v6, v23
	v_mad_u32_u24 v23, v22, 24, 0
	v_dual_fmac_f32 v3, -0.5, v24 :: v_dual_fmamk_f32 v6, v5, 0xbf5db3d7, v2
	s_delay_alu instid0(VALU_DEP_4) | instskip(NEXT) | instid1(VALU_DEP_2)
	v_dual_fmac_f32 v2, 0x3f5db3d7, v5 :: v_dual_add_f32 v5, v7, v11
	v_dual_fmamk_f32 v7, v10, 0x3f5db3d7, v3 :: v_dual_lshlrev_b32 v24, 4, v22
	v_fmac_f32_e32 v3, 0xbf5db3d7, v10
	v_add_nc_u32_e32 v10, 0xf78, v23
	ds_store_2addr_b64 v23, v[14:15], v[16:17] offset1:1
	ds_store_b64 v23, v[8:9] offset:16
	v_sub_nc_u32_e32 v8, v23, v24
	v_add_nc_u32_e32 v11, 0x1ef0, v23
	ds_store_2addr_b64 v10, v[18:19], v[12:13] offset1:1
	ds_store_2addr_b64 v11, v[4:5], v[6:7] offset1:1
	ds_store_b64 v23, v[0:1] offset:3976
	ds_store_b64 v23, v[2:3] offset:7936
	global_wb scope:SCOPE_SE
	s_wait_dscnt 0x0
	s_barrier_signal -1
	s_barrier_wait -1
	global_inv scope:SCOPE_SE
	ds_load_b64 v[10:11], v8
	ds_load_b64 v[18:19], v8 offset:2376
	ds_load_b64 v[16:17], v8 offset:4752
	;; [unrolled: 1-line block ×4, first 2 shown]
	v_sub_nc_u32_e32 v12, 0, v24
                                        ; implicit-def: $vgpr13
	s_delay_alu instid0(VALU_DEP_1)
	v_add_nc_u32_e32 v25, v23, v12
	s_and_saveexec_b32 s1, s0
	s_cbranch_execz .LBB0_13
; %bb.12:
	ds_load_b64 v[0:1], v25 offset:1320
	ds_load_b64 v[4:5], v25 offset:3696
	;; [unrolled: 1-line block ×5, first 2 shown]
.LBB0_13:
	s_wait_alu 0xfffe
	s_or_b32 exec_lo, exec_lo, s1
	v_and_b32_e32 v27, 0xff, v22
	v_add_nc_u32_e32 v26, 0xa5, v22
	s_delay_alu instid0(VALU_DEP_2) | instskip(NEXT) | instid1(VALU_DEP_2)
	v_mul_lo_u16 v23, 0xab, v27
	v_and_b32_e32 v24, 0xffff, v26
	s_delay_alu instid0(VALU_DEP_2) | instskip(NEXT) | instid1(VALU_DEP_2)
	v_lshrrev_b16 v44, 9, v23
	v_mul_u32_u24_e32 v24, 0xaaab, v24
	s_delay_alu instid0(VALU_DEP_2) | instskip(NEXT) | instid1(VALU_DEP_1)
	v_mul_lo_u16 v23, v44, 3
	v_sub_nc_u16 v23, v22, v23
	s_delay_alu instid0(VALU_DEP_1) | instskip(NEXT) | instid1(VALU_DEP_4)
	v_and_b32_e32 v45, 0xff, v23
	v_lshrrev_b32_e32 v23, 17, v24
	s_delay_alu instid0(VALU_DEP_2) | instskip(NEXT) | instid1(VALU_DEP_2)
	v_lshlrev_b32_e32 v24, 5, v45
	v_mul_lo_u16 v32, v23, 3
	global_load_b128 v[28:31], v24, s[4:5]
	v_sub_nc_u16 v36, v26, v32
	global_load_b128 v[32:35], v24, s[4:5] offset:16
	v_and_b32_e32 v44, 0xffff, v44
	v_and_b32_e32 v24, 0xffff, v36
	s_delay_alu instid0(VALU_DEP_2)
	v_mul_u32_u24_e32 v44, 0x78, v44
	s_wait_loadcnt_dscnt 0x102
	v_mul_f32_e32 v46, v31, v17
	v_mul_f32_e32 v31, v31, v16
	s_wait_loadcnt_dscnt 0x1
	v_dual_mul_f32 v47, v33, v15 :: v_dual_lshlrev_b32 v40, 5, v24
	v_mul_f32_e32 v33, v33, v14
	s_clause 0x1
	global_load_b128 v[36:39], v40, s[4:5]
	global_load_b128 v[40:43], v40, s[4:5] offset:16
	s_wait_dscnt 0x0
	v_mul_f32_e32 v48, v35, v9
	v_dual_fmac_f32 v46, v30, v16 :: v_dual_lshlrev_b32 v45, 3, v45
	v_mul_f32_e32 v35, v35, v8
	v_fma_f32 v16, v30, v17, -v31
	s_delay_alu instid0(VALU_DEP_4) | instskip(NEXT) | instid1(VALU_DEP_4)
	v_dual_fmac_f32 v47, v32, v14 :: v_dual_fmac_f32 v48, v34, v8
	v_add3_u32 v44, 0, v44, v45
	v_mul_f32_e32 v45, v29, v19
	v_mul_f32_e32 v29, v29, v18
	v_fma_f32 v14, v32, v15, -v33
	global_wb scope:SCOPE_SE
	s_wait_loadcnt 0x0
	s_barrier_signal -1
	v_fmac_f32_e32 v45, v28, v18
	v_fma_f32 v18, v28, v19, -v29
	s_barrier_wait -1
	global_inv scope:SCOPE_SE
	v_sub_f32_e32 v32, v16, v14
	v_mul_f32_e32 v8, v5, v37
	v_fma_f32 v15, v34, v9, -v35
	v_dual_mul_f32 v9, v4, v37 :: v_dual_mul_f32 v30, v13, v43
	s_delay_alu instid0(VALU_DEP_3) | instskip(SKIP_1) | instid1(VALU_DEP_3)
	v_dual_mul_f32 v17, v7, v39 :: v_dual_fmac_f32 v8, v4, v36
	v_dual_mul_f32 v19, v6, v39 :: v_dual_mul_f32 v28, v3, v41
	v_dual_mul_f32 v29, v2, v41 :: v_dual_fmac_f32 v30, v12, v42
	v_mul_f32_e32 v31, v12, v43
	v_fma_f32 v4, v5, v36, -v9
	s_delay_alu instid0(VALU_DEP_4)
	v_fmac_f32_e32 v28, v2, v40
	v_dual_fmac_f32 v17, v6, v38 :: v_dual_sub_f32 v36, v45, v48
	v_fma_f32 v5, v7, v38, -v19
	v_fma_f32 v19, v3, v40, -v29
	;; [unrolled: 1-line block ×3, first 2 shown]
	v_dual_add_f32 v2, v10, v45 :: v_dual_sub_f32 v7, v48, v47
	v_add_f32_e32 v3, v46, v47
	v_dual_sub_f32 v31, v18, v15 :: v_dual_sub_f32 v6, v45, v46
	v_dual_add_f32 v9, v45, v48 :: v_dual_add_f32 v34, v11, v18
	v_sub_f32_e32 v13, v46, v45
	v_dual_sub_f32 v33, v47, v48 :: v_dual_add_f32 v40, v18, v15
	v_dual_add_f32 v35, v16, v14 :: v_dual_sub_f32 v38, v18, v16
	v_dual_sub_f32 v39, v15, v14 :: v_dual_add_f32 v42, v6, v7
	v_dual_sub_f32 v18, v16, v18 :: v_dual_sub_f32 v41, v14, v15
	v_sub_f32_e32 v37, v46, v47
	v_dual_add_f32 v2, v2, v46 :: v_dual_add_f32 v33, v13, v33
	v_fma_f32 v12, -0.5, v3, v10
	v_fma_f32 v10, -0.5, v9, v10
	v_add_f32_e32 v3, v34, v16
	v_fma_f32 v13, -0.5, v35, v11
	v_dual_add_f32 v34, v38, v39 :: v_dual_fmac_f32 v11, -0.5, v40
	v_dual_add_f32 v35, v18, v41 :: v_dual_sub_f32 v46, v28, v30
	v_add_f32_e32 v16, v0, v8
	v_add_f32_e32 v18, v17, v28
	v_dual_sub_f32 v41, v30, v28 :: v_dual_add_f32 v50, v5, v19
	v_dual_add_f32 v43, v8, v30 :: v_dual_sub_f32 v52, v17, v28
	v_dual_add_f32 v49, v1, v4 :: v_dual_fmamk_f32 v6, v31, 0xbf737871, v12
	v_dual_add_f32 v55, v4, v29 :: v_dual_fmac_f32 v12, 0x3f737871, v31
	v_dual_sub_f32 v38, v4, v29 :: v_dual_sub_f32 v39, v5, v19
	v_dual_sub_f32 v40, v8, v17 :: v_dual_sub_f32 v45, v17, v8
	;; [unrolled: 1-line block ×4, first 2 shown]
	v_dual_sub_f32 v4, v5, v4 :: v_dual_add_f32 v47, v2, v47
	v_fmamk_f32 v8, v32, 0x3f737871, v10
	v_dual_fmac_f32 v10, 0xbf737871, v32 :: v_dual_fmamk_f32 v9, v37, 0xbf737871, v11
	v_dual_add_f32 v14, v3, v14 :: v_dual_fmamk_f32 v7, v36, 0x3f737871, v13
	v_dual_fmac_f32 v13, 0xbf737871, v36 :: v_dual_add_f32 v16, v16, v17
	v_fmac_f32_e32 v11, 0x3f737871, v37
	v_fma_f32 v2, -0.5, v18, v0
	v_dual_fmac_f32 v0, -0.5, v43 :: v_dual_add_f32 v17, v49, v5
	v_fma_f32 v3, -0.5, v50, v1
	v_dual_fmac_f32 v1, -0.5, v55 :: v_dual_fmac_f32 v12, 0x3f167918, v32
	v_dual_add_f32 v40, v40, v41 :: v_dual_add_f32 v41, v45, v46
	v_dual_add_f32 v45, v4, v56 :: v_dual_fmac_f32 v8, 0xbf167918, v31
	v_dual_add_f32 v4, v47, v48 :: v_dual_add_f32 v5, v14, v15
	v_add_f32_e32 v14, v16, v28
	v_dual_fmamk_f32 v16, v38, 0xbf737871, v2 :: v_dual_add_f32 v15, v17, v19
	v_dual_fmac_f32 v2, 0x3f737871, v38 :: v_dual_fmamk_f32 v17, v51, 0x3f737871, v3
	v_fmamk_f32 v18, v39, 0x3f737871, v0
	v_dual_fmac_f32 v0, 0xbf737871, v39 :: v_dual_fmamk_f32 v19, v52, 0xbf737871, v1
	v_fmac_f32_e32 v3, 0xbf737871, v51
	v_fmac_f32_e32 v1, 0x3f737871, v52
	v_dual_add_f32 v43, v53, v54 :: v_dual_fmac_f32 v6, 0xbf167918, v32
	v_dual_fmac_f32 v10, 0x3f167918, v31 :: v_dual_fmac_f32 v7, 0x3f167918, v37
	v_dual_fmac_f32 v13, 0xbf167918, v37 :: v_dual_add_f32 v14, v14, v30
	v_dual_fmac_f32 v9, 0x3f167918, v36 :: v_dual_fmac_f32 v2, 0x3f167918, v39
	v_dual_fmac_f32 v11, 0xbf167918, v36 :: v_dual_fmac_f32 v16, 0xbf167918, v39
	v_dual_fmac_f32 v18, 0xbf167918, v38 :: v_dual_add_f32 v15, v15, v29
	v_dual_fmac_f32 v0, 0x3f167918, v38 :: v_dual_fmac_f32 v17, 0x3f167918, v52
	v_fmac_f32_e32 v3, 0xbf167918, v52
	v_fmac_f32_e32 v19, 0x3f167918, v51
	;; [unrolled: 1-line block ×3, first 2 shown]
	v_dual_fmac_f32 v6, 0x3e9e377a, v42 :: v_dual_fmac_f32 v9, 0x3e9e377a, v35
	v_dual_fmac_f32 v12, 0x3e9e377a, v42 :: v_dual_fmac_f32 v11, 0x3e9e377a, v35
	;; [unrolled: 1-line block ×6, first 2 shown]
	v_fmac_f32_e32 v18, 0x3e9e377a, v41
	v_fmac_f32_e32 v0, 0x3e9e377a, v41
	;; [unrolled: 1-line block ×4, first 2 shown]
	ds_store_2addr_b64 v44, v[4:5], v[6:7] offset1:3
	ds_store_2addr_b64 v44, v[8:9], v[10:11] offset0:6 offset1:9
	ds_store_b64 v44, v[12:13] offset:96
	s_and_saveexec_b32 s1, s0
	s_cbranch_execz .LBB0_15
; %bb.14:
	v_mul_lo_u16 v23, v23, 15
	v_lshlrev_b32_e32 v24, 3, v24
	s_delay_alu instid0(VALU_DEP_2) | instskip(NEXT) | instid1(VALU_DEP_1)
	v_and_b32_e32 v23, 0xffff, v23
	v_lshlrev_b32_e32 v23, 3, v23
	s_delay_alu instid0(VALU_DEP_1)
	v_add3_u32 v23, 0, v24, v23
	ds_store_2addr_b64 v23, v[14:15], v[16:17] offset1:3
	ds_store_2addr_b64 v23, v[18:19], v[0:1] offset0:6 offset1:9
	ds_store_b64 v23, v[2:3] offset:96
.LBB0_15:
	s_wait_alu 0xfffe
	s_or_b32 exec_lo, exec_lo, s1
	v_cmp_gt_u32_e64 s0, 0x87, v22
	global_wb scope:SCOPE_SE
	s_wait_dscnt 0x0
	s_barrier_signal -1
	s_barrier_wait -1
	global_inv scope:SCOPE_SE
                                        ; implicit-def: $vgpr24
	s_and_saveexec_b32 s1, s0
	s_cbranch_execz .LBB0_17
; %bb.16:
	v_add_nc_u32_e32 v0, 0x800, v25
	v_add_nc_u32_e32 v1, 0x1000, v25
	v_add_nc_u32_e32 v2, 0x1800, v25
	v_add_nc_u32_e32 v3, 0x2000, v25
	ds_load_2addr_b64 v[4:7], v25 offset1:135
	ds_load_2addr_b64 v[8:11], v0 offset0:14 offset1:149
	ds_load_2addr_b64 v[12:15], v1 offset0:28 offset1:163
	;; [unrolled: 1-line block ×4, first 2 shown]
	ds_load_b64 v[23:24], v25 offset:10800
.LBB0_17:
	s_wait_alu 0xfffe
	s_or_b32 exec_lo, exec_lo, s1
	global_wb scope:SCOPE_SE
	s_wait_dscnt 0x0
	s_barrier_signal -1
	s_barrier_wait -1
	global_inv scope:SCOPE_SE
	s_and_saveexec_b32 s1, s0
	s_cbranch_execz .LBB0_19
; %bb.18:
	v_mul_lo_u16 v27, 0x89, v27
	s_delay_alu instid0(VALU_DEP_1) | instskip(NEXT) | instid1(VALU_DEP_1)
	v_lshrrev_b16 v27, 11, v27
	v_mul_lo_u16 v28, v27, 15
	s_delay_alu instid0(VALU_DEP_1) | instskip(NEXT) | instid1(VALU_DEP_1)
	v_sub_nc_u16 v28, v22, v28
	v_and_b32_e32 v28, 0xff, v28
	s_delay_alu instid0(VALU_DEP_1) | instskip(NEXT) | instid1(VALU_DEP_1)
	v_mul_u32_u24_e32 v29, 10, v28
	v_lshlrev_b32_e32 v29, 3, v29
	s_clause 0x4
	global_load_b128 v[35:38], v29, s[4:5] offset:160
	global_load_b128 v[39:42], v29, s[4:5] offset:96
	;; [unrolled: 1-line block ×5, first 2 shown]
	v_and_b32_e32 v27, 0xffff, v27
	s_wait_loadcnt 0x4
	v_dual_mul_f32 v55, v23, v38 :: v_dual_lshlrev_b32 v28, 3, v28
	s_wait_loadcnt 0x3
	v_dual_mul_f32 v57, v8, v42 :: v_dual_mul_f32 v56, v6, v40
	v_mul_f32_e32 v40, v7, v40
	v_mul_u32_u24_e32 v27, 0x528, v27
	v_dual_mul_f32 v29, v3, v36 :: v_dual_mul_f32 v42, v9, v42
	s_wait_loadcnt 0x2
	v_dual_mul_f32 v31, v19, v44 :: v_dual_mul_f32 v30, v1, v46
	s_delay_alu instid0(VALU_DEP_3)
	v_add3_u32 v27, 0, v27, v28
	v_mul_f32_e32 v28, v24, v38
	s_wait_loadcnt 0x1
	v_dual_mul_f32 v38, v2, v36 :: v_dual_mul_f32 v59, v12, v50
	s_wait_loadcnt 0x0
	v_dual_mul_f32 v36, v0, v46 :: v_dual_mul_f32 v33, v15, v52
	v_mul_f32_e32 v34, v13, v50
	s_delay_alu instid0(VALU_DEP_3)
	v_fma_f32 v3, v3, v35, -v38
	v_fma_f32 v9, v9, v41, -v57
	v_mul_f32_e32 v46, v18, v44
	v_fma_f32 v1, v1, v45, -v36
	v_mul_f32_e32 v50, v14, v52
	v_fma_f32 v24, v24, v37, -v55
	v_fma_f32 v52, v7, v39, -v56
	;; [unrolled: 1-line block ×3, first 2 shown]
	v_dual_fmac_f32 v31, v18, v43 :: v_dual_fmac_f32 v30, v0, v45
	v_fmac_f32_e32 v33, v14, v51
	v_fmac_f32_e32 v40, v6, v39
	v_fma_f32 v6, v15, v51, -v50
	v_fmac_f32_e32 v34, v12, v49
	v_dual_fmac_f32 v28, v23, v37 :: v_dual_sub_f32 v37, v9, v3
	v_fma_f32 v0, v19, v43, -v46
	v_dual_fmac_f32 v42, v8, v41 :: v_dual_add_f32 v41, v5, v52
	v_dual_fmac_f32 v29, v2, v35 :: v_dual_mul_f32 v44, v16, v54
	s_delay_alu instid0(VALU_DEP_3) | instskip(SKIP_1) | instid1(VALU_DEP_3)
	v_sub_f32_e32 v43, v7, v0
	v_mul_f32_e32 v58, v10, v48
	v_dual_mul_f32 v48, v11, v48 :: v_dual_sub_f32 v13, v42, v29
	s_delay_alu instid0(VALU_DEP_4) | instskip(SKIP_3) | instid1(VALU_DEP_4)
	v_fma_f32 v2, v17, v53, -v44
	v_mul_f32_e32 v32, v17, v54
	v_dual_add_f32 v12, v9, v3 :: v_dual_sub_f32 v35, v52, v24
	v_mul_f32_e32 v61, 0x3f7d64f0, v37
	v_sub_f32_e32 v45, v6, v2
	v_sub_f32_e32 v17, v34, v31
	v_fmac_f32_e32 v48, v10, v47
	v_dual_add_f32 v10, v52, v24 :: v_dual_mul_f32 v67, 0xbf7d64f0, v35
	v_mul_f32_e32 v49, 0x3f575c64, v12
	v_dual_mul_f32 v60, 0xbf4178ce, v35 :: v_dual_mul_f32 v75, 0xbf4178ce, v37
	s_delay_alu instid0(VALU_DEP_4) | instskip(SKIP_4) | instid1(VALU_DEP_4)
	v_sub_f32_e32 v15, v48, v30
	v_fma_f32 v8, v11, v47, -v58
	v_sub_f32_e32 v11, v40, v28
	v_dual_fmac_f32 v32, v16, v53 :: v_dual_mul_f32 v53, 0xbe903f40, v35
	v_dual_mul_f32 v47, 0xbf75a155, v10 :: v_dual_add_f32 v16, v7, v0
	v_dual_mul_f32 v55, 0xbf27a4f4, v10 :: v_dual_add_f32 v14, v8, v1
	s_delay_alu instid0(VALU_DEP_3) | instskip(NEXT) | instid1(VALU_DEP_3)
	v_dual_add_f32 v18, v6, v2 :: v_dual_sub_f32 v19, v33, v32
	v_mul_f32_e32 v51, 0x3ed4b147, v16
	v_add_f32_e32 v23, v40, v28
	s_delay_alu instid0(VALU_DEP_3)
	v_dual_add_f32 v40, v4, v40 :: v_dual_mul_f32 v59, 0x3ed4b147, v18
	v_add_f32_e32 v46, v33, v32
	v_dual_add_f32 v36, v42, v29 :: v_dual_mul_f32 v57, 0x3f575c64, v14
	v_add_f32_e32 v38, v48, v30
	v_dual_sub_f32 v39, v8, v1 :: v_dual_mul_f32 v50, 0xbf27a4f4, v14
	v_dual_add_f32 v9, v41, v9 :: v_dual_mul_f32 v52, 0xbe11bafb, v18
	s_delay_alu instid0(VALU_DEP_4)
	v_fmamk_f32 v99, v36, 0xbe11bafb, v61
	v_mul_f32_e32 v54, 0x3f0a6770, v37
	v_dual_mul_f32 v56, 0xbe11bafb, v12 :: v_dual_fmamk_f32 v105, v23, 0xbe11bafb, v67
	v_mul_f32_e32 v65, 0x3f575c64, v16
	v_mul_f32_e32 v66, 0xbf27a4f4, v18
	v_dual_mul_f32 v68, 0x3e903f40, v37 :: v_dual_mul_f32 v77, 0x3e903f40, v39
	v_mul_f32_e32 v69, 0x3ed4b147, v10
	v_mul_f32_e32 v73, 0x3f575c64, v18
	;; [unrolled: 1-line block ×3, first 2 shown]
	v_dual_mul_f32 v76, 0xbf75a155, v18 :: v_dual_fmamk_f32 v91, v23, 0xbf75a155, v53
	v_dual_mul_f32 v18, 0xbf0a6770, v35 :: v_dual_fmamk_f32 v87, v13, 0xbf0a6770, v49
	v_mul_f32_e32 v35, 0xbf68dda4, v37
	v_add_f32_e32 v37, v40, v42
	v_mul_f32_e32 v62, 0xbe11bafb, v10
	v_mul_f32_e32 v10, 0x3f575c64, v10
	v_fmamk_f32 v86, v11, 0x3e903f40, v47
	v_fmamk_f32 v93, v11, 0x3f4178ce, v55
	v_mul_f32_e32 v70, 0xbf27a4f4, v12
	v_fmac_f32_e32 v55, 0xbf4178ce, v11
	v_fma_f32 v67, 0xbe11bafb, v23, -v67
	v_dual_add_f32 v44, v34, v31 :: v_dual_mul_f32 v63, 0xbf75a155, v12
	v_dual_mul_f32 v58, 0xbf75a155, v16 :: v_dual_mul_f32 v71, 0xbf75a155, v14
	v_dual_mul_f32 v64, 0x3ed4b147, v14 :: v_dual_fmamk_f32 v107, v23, 0x3ed4b147, v74
	v_mul_f32_e32 v12, 0x3ed4b147, v12
	v_dual_mul_f32 v42, 0x3f68dda4, v39 :: v_dual_mul_f32 v83, 0x3f68dda4, v45
	v_mul_f32_e32 v78, 0x3f68dda4, v43
	v_dual_mul_f32 v79, 0xbe903f40, v43 :: v_dual_fmamk_f32 v110, v15, 0xbe903f40, v71
	v_mul_f32_e32 v80, 0xbf0a6770, v43
	v_dual_mul_f32 v81, 0x3f7d64f0, v43 :: v_dual_fmamk_f32 v90, v19, 0x3f7d64f0, v52
	v_mul_f32_e32 v72, 0xbe11bafb, v16
	v_dual_mul_f32 v43, 0xbf4178ce, v43 :: v_dual_mul_f32 v84, 0xbf4178ce, v45
	v_mul_f32_e32 v82, 0xbf7d64f0, v45
	v_dual_mul_f32 v85, 0x3f0a6770, v45 :: v_dual_fmamk_f32 v108, v11, 0x3f0a6770, v10
	v_mul_f32_e32 v14, 0xbe11bafb, v14
	v_dual_mul_f32 v45, 0xbe903f40, v45 :: v_dual_add_f32 v8, v9, v8
	v_fmamk_f32 v92, v36, 0x3f575c64, v54
	v_dual_mul_f32 v41, 0xbf0a6770, v39 :: v_dual_fmamk_f32 v112, v19, 0xbf0a6770, v73
	v_fmac_f32_e32 v10, 0xbf0a6770, v11
	v_fmamk_f32 v106, v11, 0x3f68dda4, v69
	v_mul_f32_e32 v40, 0xbf4178ce, v39
	v_mul_f32_e32 v39, 0xbf7d64f0, v39
	v_fma_f32 v53, 0xbf75a155, v23, -v53
	v_fma_f32 v74, 0x3ed4b147, v23, -v74
	v_fmamk_f32 v109, v13, 0x3f4178ce, v70
	v_dual_add_f32 v37, v37, v48 :: v_dual_fmamk_f32 v100, v11, 0x3f7d64f0, v62
	v_add_f32_e32 v67, v4, v67
	v_fmac_f32_e32 v47, 0xbe903f40, v11
	v_fmac_f32_e32 v62, 0xbf7d64f0, v11
	;; [unrolled: 1-line block ×3, first 2 shown]
	v_dual_fmamk_f32 v98, v23, 0xbf27a4f4, v60 :: v_dual_add_f32 v55, v5, v55
	v_mul_f32_e32 v16, 0xbf27a4f4, v16
	v_fma_f32 v60, 0xbf27a4f4, v23, -v60
	v_fmac_f32_e32 v69, 0xbf68dda4, v11
	v_fmamk_f32 v11, v23, 0x3f575c64, v18
	v_fmamk_f32 v88, v15, 0x3f4178ce, v50
	v_dual_fmamk_f32 v89, v17, 0xbf68dda4, v51 :: v_dual_fmamk_f32 v102, v15, 0xbf68dda4, v64
	v_dual_fmamk_f32 v94, v13, 0xbf7d64f0, v56 :: v_dual_add_f32 v53, v4, v53
	v_fmamk_f32 v95, v15, 0x3f0a6770, v57
	v_fmamk_f32 v96, v17, 0x3e903f40, v58
	;; [unrolled: 1-line block ×3, first 2 shown]
	v_dual_fmamk_f32 v101, v13, 0xbe903f40, v63 :: v_dual_fmac_f32 v58, 0xbe903f40, v17
	v_fmamk_f32 v103, v17, 0x3f0a6770, v65
	v_fma_f32 v18, 0x3f575c64, v23, -v18
	v_dual_fmamk_f32 v23, v36, 0xbf75a155, v68 :: v_dual_fmamk_f32 v124, v46, 0xbf75a155, v45
	v_fmamk_f32 v9, v36, 0xbf27a4f4, v75
	v_dual_fmamk_f32 v48, v13, 0x3f68dda4, v12 :: v_dual_fmac_f32 v59, 0x3f68dda4, v19
	v_fmac_f32_e32 v49, 0x3f0a6770, v13
	v_dual_fmac_f32 v56, 0x3f7d64f0, v13 :: v_dual_add_f32 v7, v8, v7
	v_fmac_f32_e32 v63, 0x3e903f40, v13
	v_fmac_f32_e32 v12, 0xbf68dda4, v13
	v_dual_fmamk_f32 v13, v15, 0x3f7d64f0, v14 :: v_dual_add_f32 v8, v37, v34
	v_fmac_f32_e32 v50, 0xbf4178ce, v15
	v_fmac_f32_e32 v57, 0xbf0a6770, v15
	;; [unrolled: 1-line block ×6, first 2 shown]
	v_fma_f32 v54, 0x3f575c64, v36, -v54
	v_fmac_f32_e32 v14, 0xbf7d64f0, v15
	v_fmamk_f32 v15, v17, 0x3f4178ce, v16
	v_fmac_f32_e32 v16, 0xbf4178ce, v17
	v_fma_f32 v61, 0xbe11bafb, v36, -v61
	v_fma_f32 v68, 0xbf75a155, v36, -v68
	;; [unrolled: 1-line block ×3, first 2 shown]
	v_dual_fmamk_f32 v113, v38, 0x3f575c64, v41 :: v_dual_fmamk_f32 v118, v44, 0x3f575c64, v80
	v_fma_f32 v41, 0x3f575c64, v38, -v41
	v_fmamk_f32 v114, v38, 0x3ed4b147, v42
	v_fma_f32 v42, 0x3ed4b147, v38, -v42
	v_fmamk_f32 v115, v38, 0xbf75a155, v77
	;; [unrolled: 2-line block ×3, first 2 shown]
	v_fmamk_f32 v117, v44, 0xbf75a155, v79
	v_fma_f32 v79, 0xbf75a155, v44, -v79
	v_fma_f32 v80, 0x3f575c64, v44, -v80
	v_fmamk_f32 v119, v44, 0xbe11bafb, v81
	v_fmamk_f32 v111, v17, 0xbf7d64f0, v72
	v_fma_f32 v81, 0xbe11bafb, v44, -v81
	v_fmamk_f32 v120, v44, 0xbf27a4f4, v43
	v_fma_f32 v43, 0xbf27a4f4, v44, -v43
	;; [unrolled: 2-line block ×4, first 2 shown]
	v_fma_f32 v45, 0xbf75a155, v46, -v45
	v_dual_add_f32 v11, v4, v11 :: v_dual_fmac_f32 v72, 0x3f7d64f0, v17
	v_dual_fmamk_f32 v17, v19, 0x3e903f40, v76 :: v_dual_add_f32 v60, v4, v60
	v_dual_fmamk_f32 v104, v19, 0x3f4178ce, v66 :: v_dual_add_f32 v69, v5, v69
	v_fmac_f32_e32 v52, 0xbf7d64f0, v19
	v_fmac_f32_e32 v66, 0xbf4178ce, v19
	v_dual_add_f32 v74, v4, v74 :: v_dual_fmac_f32 v73, 0x3f0a6770, v19
	v_fmac_f32_e32 v76, 0xbe903f40, v19
	v_fmamk_f32 v19, v36, 0x3ed4b147, v35
	v_fma_f32 v35, 0x3ed4b147, v36, -v35
	v_fmamk_f32 v36, v38, 0xbf27a4f4, v40
	v_fma_f32 v40, 0xbf27a4f4, v38, -v40
	v_fma_f32 v38, 0xbe11bafb, v38, -v39
	v_dual_fmamk_f32 v39, v44, 0x3ed4b147, v78 :: v_dual_add_f32 v6, v7, v6
	v_fma_f32 v78, 0x3ed4b147, v44, -v78
	v_fmamk_f32 v44, v46, 0xbe11bafb, v82
	v_fma_f32 v82, 0xbe11bafb, v46, -v82
	v_fmamk_f32 v121, v46, 0x3ed4b147, v83
	v_fma_f32 v83, 0x3ed4b147, v46, -v83
	v_add_f32_e32 v46, v5, v86
	v_dual_add_f32 v86, v4, v91 :: v_dual_add_f32 v91, v5, v93
	v_dual_add_f32 v93, v4, v98 :: v_dual_add_f32 v98, v5, v100
	;; [unrolled: 1-line block ×5, first 2 shown]
	v_add_f32_e32 v18, v92, v86
	v_dual_add_f32 v34, v94, v91 :: v_dual_add_f32 v37, v99, v93
	v_add_f32_e32 v62, v5, v62
	s_delay_alu instid0(VALU_DEP_4)
	v_add_f32_e32 v4, v35, v4
	v_add_f32_e32 v23, v23, v100
	;; [unrolled: 1-line block ×3, first 2 shown]
	v_dual_add_f32 v7, v8, v33 :: v_dual_add_f32 v10, v87, v46
	v_add_f32_e32 v46, v101, v98
	v_add_f32_e32 v86, v109, v105
	v_dual_add_f32 v9, v9, v106 :: v_dual_add_f32 v48, v48, v107
	v_add_f32_e32 v11, v19, v11
	v_dual_add_f32 v8, v49, v47 :: v_dual_add_f32 v19, v54, v53
	v_add_f32_e32 v33, v56, v55
	v_add_f32_e32 v47, v61, v60
	;; [unrolled: 1-line block ×6, first 2 shown]
	v_dual_add_f32 v54, v70, v69 :: v_dual_add_f32 v11, v116, v11
	v_dual_add_f32 v12, v36, v18 :: v_dual_add_f32 v23, v114, v23
	v_add_f32_e32 v18, v95, v34
	v_add_f32_e32 v34, v113, v37
	;; [unrolled: 1-line block ×3, first 2 shown]
	v_dual_add_f32 v6, v7, v32 :: v_dual_add_f32 v37, v42, v53
	v_add_f32_e32 v10, v88, v10
	v_add_f32_e32 v35, v102, v46
	v_dual_add_f32 v36, v110, v86 :: v_dual_add_f32 v9, v115, v9
	v_add_f32_e32 v13, v13, v48
	v_dual_add_f32 v7, v50, v8 :: v_dual_add_f32 v8, v40, v19
	v_add_f32_e32 v5, v14, v5
	v_add_f32_e32 v19, v57, v33
	v_dual_add_f32 v32, v41, v47 :: v_dual_add_f32 v33, v64, v49
	v_dual_add_f32 v40, v71, v54 :: v_dual_add_f32 v41, v77, v55
	;; [unrolled: 1-line block ×4, first 2 shown]
	v_add_f32_e32 v0, v2, v0
	v_add_f32_e32 v2, v6, v31
	v_dual_add_f32 v4, v38, v4 :: v_dual_add_f32 v13, v15, v13
	v_dual_add_f32 v10, v89, v10 :: v_dual_add_f32 v15, v120, v11
	;; [unrolled: 1-line block ×4, first 2 shown]
	v_add_f32_e32 v35, v111, v36
	v_dual_add_f32 v36, v119, v9 :: v_dual_add_f32 v39, v72, v40
	v_add_f32_e32 v31, v51, v7
	v_add_f32_e32 v32, v79, v32
	s_delay_alu instid0(VALU_DEP_4)
	v_dual_add_f32 v40, v81, v41 :: v_dual_add_f32 v11, v112, v35
	v_add_f32_e32 v41, v16, v5
	v_add_f32_e32 v7, v97, v14
	;; [unrolled: 1-line block ×5, first 2 shown]
	v_dual_add_f32 v38, v78, v8 :: v_dual_add_f32 v9, v104, v34
	v_dual_add_f32 v42, v43, v4 :: v_dual_add_f32 v13, v17, v13
	;; [unrolled: 1-line block ×3, first 2 shown]
	v_add_f32_e32 v8, v122, v23
	v_dual_add_f32 v12, v124, v15 :: v_dual_add_f32 v29, v2, v29
	v_add_f32_e32 v15, v59, v19
	v_dual_add_f32 v19, v73, v39 :: v_dual_add_f32 v14, v83, v32
	v_dual_add_f32 v23, v18, v3 :: v_dual_add_f32 v10, v123, v36
	v_add_f32_e32 v17, v66, v33
	v_dual_add_f32 v1, v52, v31 :: v_dual_add_f32 v0, v82, v38
	v_add_f32_e32 v16, v84, v37
	v_add_f32_e32 v18, v85, v40
	;; [unrolled: 1-line block ×4, first 2 shown]
	v_dual_add_f32 v3, v76, v41 :: v_dual_add_f32 v2, v45, v42
	ds_store_2addr_b64 v27, v[10:11], v[8:9] offset0:30 offset1:45
	ds_store_2addr_b64 v27, v[6:7], v[4:5] offset0:60 offset1:75
	;; [unrolled: 1-line block ×4, first 2 shown]
	ds_store_2addr_b64 v27, v[23:24], v[12:13] offset1:15
	ds_store_b64 v27, v[2:3] offset:1200
.LBB0_19:
	s_wait_alu 0xfffe
	s_or_b32 exec_lo, exec_lo, s1
	v_dual_mov_b32 v1, 0 :: v_dual_add_nc_u32 v4, 0x14a, v22
	v_lshlrev_b32_e32 v0, 1, v22
	global_wb scope:SCOPE_SE
	s_wait_dscnt 0x0
	s_barrier_signal -1
	s_barrier_wait -1
	global_inv scope:SCOPE_SE
	v_lshlrev_b64_e32 v[2:3], 3, v[0:1]
	v_lshl_add_u32 v8, v22, 3, 0
	ds_load_b64 v[17:18], v25
	v_add_co_u32 v2, s0, s4, v2
	s_wait_alu 0xf1ff
	v_add_co_ci_u32_e64 v3, s0, s5, v3, s0
	global_load_b128 v[9:12], v[2:3], off offset:1296
	v_and_b32_e32 v5, 0xffff, v4
	v_add_nc_u32_e32 v6, 0x1800, v25
	v_add_nc_u32_e32 v7, 0x2400, v25
	s_delay_alu instid0(VALU_DEP_3) | instskip(SKIP_3) | instid1(VALU_DEP_1)
	v_mul_u32_u24_e32 v0, 0x8d31, v5
	ds_load_2addr_b64 v[31:34], v6 offset0:57 offset1:222
	ds_load_2addr_b64 v[35:38], v7 offset0:3 offset1:168
	v_lshrrev_b32_e32 v0, 16, v0
	v_sub_nc_u16 v5, v4, v0
	s_delay_alu instid0(VALU_DEP_1) | instskip(NEXT) | instid1(VALU_DEP_1)
	v_lshrrev_b16 v5, 1, v5
	v_add_nc_u16 v0, v5, v0
	s_delay_alu instid0(VALU_DEP_1) | instskip(NEXT) | instid1(VALU_DEP_1)
	v_lshrrev_b16 v0, 7, v0
	v_mul_lo_u16 v0, 0xa5, v0
	s_delay_alu instid0(VALU_DEP_1) | instskip(SKIP_1) | instid1(VALU_DEP_1)
	v_sub_nc_u16 v0, v4, v0
	s_wait_loadcnt_dscnt 0x1
	v_dual_mul_f32 v45, v12, v34 :: v_dual_and_b32 v0, 0xffff, v0
	s_delay_alu instid0(VALU_DEP_1)
	v_dual_mul_f32 v46, v12, v33 :: v_dual_lshlrev_b32 v5, 4, v0
	s_wait_dscnt 0x0
	v_mul_f32_e32 v48, v12, v36
	v_lshl_add_u32 v0, v0, 3, 0
	v_add_nc_u32_e32 v19, 0x800, v25
	global_load_b128 v[13:16], v5, s[4:5] offset:1296
	v_dual_mul_f32 v12, v12, v35 :: v_dual_add_nc_u32 v5, 0xe00, v25
	v_dual_fmac_f32 v45, v11, v33 :: v_dual_add_nc_u32 v44, 0x1e00, v0
	v_fmac_f32_e32 v48, v11, v35
	ds_load_2addr_b64 v[27:30], v5 offset0:47 offset1:212
	v_fma_f32 v12, v11, v36, -v12
	s_wait_dscnt 0x0
	v_mul_f32_e32 v23, v10, v28
	v_add_nc_u32_e32 v8, 0x400, v8
	v_mul_f32_e32 v24, v10, v27
	v_mul_f32_e32 v47, v10, v30
	s_delay_alu instid0(VALU_DEP_4)
	v_fmac_f32_e32 v23, v9, v27
	ds_load_2addr_b64 v[39:42], v8 offset0:37 offset1:202
	v_fma_f32 v24, v9, v28, -v24
	v_fma_f32 v27, v11, v34, -v46
	v_fmac_f32_e32 v47, v9, v29
	v_add_nc_u32_e32 v43, 0x1400, v25
	v_add_f32_e32 v11, v23, v45
	global_wb scope:SCOPE_SE
	s_wait_loadcnt_dscnt 0x0
	v_sub_f32_e32 v28, v24, v27
	v_mul_f32_e32 v10, v10, v29
	v_dual_add_f32 v29, v18, v24 :: v_dual_add_f32 v24, v24, v27
	s_barrier_signal -1
	s_barrier_wait -1
	s_delay_alu instid0(VALU_DEP_2) | instskip(SKIP_3) | instid1(VALU_DEP_4)
	v_fma_f32 v9, v9, v30, -v10
	v_sub_f32_e32 v30, v23, v45
	v_dual_add_f32 v10, v17, v23 :: v_dual_add_f32 v33, v47, v48
	v_fma_f32 v17, -0.5, v11, v17
	v_sub_f32_e32 v34, v9, v12
	v_dual_add_f32 v36, v9, v12 :: v_dual_add_f32 v23, v39, v47
	v_add_f32_e32 v35, v40, v9
	v_dual_add_f32 v9, v10, v45 :: v_dual_add_f32 v10, v29, v27
	v_dual_sub_f32 v46, v47, v48 :: v_dual_fmamk_f32 v27, v28, 0xbf5db3d7, v17
	s_delay_alu instid0(VALU_DEP_4)
	v_add_f32_e32 v11, v23, v48
	v_fma_f32 v23, -0.5, v33, v39
	v_fmac_f32_e32 v18, -0.5, v24
	v_add_f32_e32 v12, v35, v12
	v_fma_f32 v24, -0.5, v36, v40
	v_fmac_f32_e32 v17, 0x3f5db3d7, v28
	v_fmamk_f32 v29, v34, 0xbf5db3d7, v23
	v_fmamk_f32 v28, v30, 0x3f5db3d7, v18
	v_fmac_f32_e32 v18, 0xbf5db3d7, v30
	v_fmac_f32_e32 v23, 0x3f5db3d7, v34
	global_inv scope:SCOPE_SE
	v_fmamk_f32 v30, v46, 0x3f5db3d7, v24
	v_dual_fmac_f32 v24, 0xbf5db3d7, v46 :: v_dual_mul_f32 v33, v14, v32
	v_mul_f32_e32 v35, v38, v16
	v_mul_f32_e32 v14, v14, v31
	;; [unrolled: 1-line block ×3, first 2 shown]
	s_delay_alu instid0(VALU_DEP_4) | instskip(NEXT) | instid1(VALU_DEP_3)
	v_fmac_f32_e32 v33, v13, v31
	v_fma_f32 v13, v13, v32, -v14
	v_fmac_f32_e32 v35, v37, v15
	s_delay_alu instid0(VALU_DEP_4) | instskip(NEXT) | instid1(VALU_DEP_2)
	v_fma_f32 v14, v38, v15, -v16
	v_dual_add_f32 v34, v42, v13 :: v_dual_add_f32 v15, v33, v35
	s_delay_alu instid0(VALU_DEP_2)
	v_sub_f32_e32 v32, v13, v14
	v_add_f32_e32 v16, v41, v33
	v_sub_f32_e32 v33, v33, v35
	v_add_f32_e32 v31, v13, v14
	v_add_f32_e32 v14, v34, v14
	v_fma_f32 v41, -0.5, v15, v41
	s_delay_alu instid0(VALU_DEP_1) | instskip(SKIP_1) | instid1(VALU_DEP_2)
	v_dual_fmac_f32 v42, -0.5, v31 :: v_dual_fmamk_f32 v15, v32, 0xbf5db3d7, v41
	v_fmac_f32_e32 v41, 0x3f5db3d7, v32
	v_dual_add_f32 v13, v16, v35 :: v_dual_fmamk_f32 v16, v33, 0x3f5db3d7, v42
	v_fmac_f32_e32 v42, 0xbf5db3d7, v33
	ds_store_2addr_b64 v25, v[9:10], v[27:28] offset1:165
	ds_store_2addr_b64 v19, v[17:18], v[11:12] offset0:74 offset1:239
	ds_store_2addr_b64 v43, v[29:30], v[23:24] offset0:20 offset1:185
	;; [unrolled: 1-line block ×3, first 2 shown]
	ds_store_b64 v0, v[41:42] offset:10560
	global_wb scope:SCOPE_SE
	s_wait_dscnt 0x0
	s_barrier_signal -1
	s_barrier_wait -1
	global_inv scope:SCOPE_SE
	s_and_saveexec_b32 s0, vcc_lo
	s_cbranch_execz .LBB0_21
; %bb.20:
	v_dual_mov_b32 v23, v1 :: v_dual_lshlrev_b32 v0, 1, v4
	s_delay_alu instid0(VALU_DEP_1) | instskip(NEXT) | instid1(VALU_DEP_1)
	v_lshlrev_b64_e32 v[9:10], 3, v[0:1]
	v_add_co_u32 v9, vcc_lo, s4, v9
	s_wait_alu 0xfffd
	s_delay_alu instid0(VALU_DEP_2)
	v_add_co_ci_u32_e32 v10, vcc_lo, s5, v10, vcc_lo
	s_clause 0x1
	global_load_b128 v[9:12], v[9:10], off offset:3936
	global_load_b128 v[13:16], v[2:3], off offset:3936
	ds_load_2addr_b64 v[39:42], v7 offset0:3 offset1:168
	v_lshlrev_b32_e32 v0, 1, v26
	ds_load_2addr_b64 v[35:38], v6 offset0:57 offset1:222
	ds_load_2addr_b64 v[31:34], v8 offset0:37 offset1:202
	v_mul_hi_u32 v8, 0x21195767, v4
	v_lshlrev_b64_e32 v[17:18], 3, v[0:1]
	v_mul_hi_u32 v0, 0x21195767, v26
	s_delay_alu instid0(VALU_DEP_3) | instskip(NEXT) | instid1(VALU_DEP_3)
	v_lshrrev_b32_e32 v8, 6, v8
	v_add_co_u32 v2, vcc_lo, s4, v17
	s_wait_alu 0xfffd
	s_delay_alu instid0(VALU_DEP_4) | instskip(NEXT) | instid1(VALU_DEP_4)
	v_add_co_ci_u32_e32 v3, vcc_lo, s5, v18, vcc_lo
	v_lshrrev_b32_e32 v0, 6, v0
	v_lshlrev_b64_e32 v[17:18], 3, v[22:23]
	v_add_co_u32 v22, vcc_lo, s8, v20
	global_load_b128 v[27:30], v[2:3], off offset:3936
	ds_load_2addr_b64 v[2:5], v5 offset0:47 offset1:212
	ds_load_b64 v[6:7], v25
	v_mul_u32_u24_e32 v0, 0x3de, v0
	s_wait_alu 0xfffd
	v_add_co_ci_u32_e32 v21, vcc_lo, s9, v21, vcc_lo
	v_add_co_u32 v17, vcc_lo, v22, v17
	s_delay_alu instid0(VALU_DEP_3) | instskip(SKIP_3) | instid1(VALU_DEP_2)
	v_lshlrev_b64_e32 v[19:20], 3, v[0:1]
	v_mul_u32_u24_e32 v0, 0x3de, v8
	s_wait_alu 0xfffd
	v_add_co_ci_u32_e32 v18, vcc_lo, v21, v18, vcc_lo
	v_lshlrev_b64_e32 v[0:1], 3, v[0:1]
	s_delay_alu instid0(VALU_DEP_4) | instskip(SKIP_1) | instid1(VALU_DEP_3)
	v_add_co_u32 v19, vcc_lo, v17, v19
	s_wait_alu 0xfffd
	v_add_co_ci_u32_e32 v20, vcc_lo, v18, v20, vcc_lo
	s_delay_alu instid0(VALU_DEP_3)
	v_add_co_u32 v0, vcc_lo, v17, v0
	s_wait_alu 0xfffd
	v_add_co_ci_u32_e32 v1, vcc_lo, v18, v1, vcc_lo
	s_wait_loadcnt_dscnt 0x203
	v_dual_mul_f32 v21, v12, v41 :: v_dual_mul_f32 v8, v10, v35
	v_mul_f32_e32 v10, v10, v36
	s_wait_loadcnt_dscnt 0x101
	v_dual_mul_f32 v22, v11, v41 :: v_dual_mul_f32 v23, v14, v2
	v_mul_f32_e32 v24, v16, v37
	v_fma_f32 v8, v9, v36, -v8
	v_mul_f32_e32 v16, v16, v38
	v_fma_f32 v11, v11, v42, -v21
	s_wait_loadcnt 0x0
	v_dual_mul_f32 v21, v28, v5 :: v_dual_mul_f32 v14, v14, v3
	v_mul_f32_e32 v25, v30, v40
	v_fmac_f32_e32 v22, v42, v12
	v_fma_f32 v3, v13, v3, -v23
	v_fma_f32 v23, v15, v38, -v24
	v_fmac_f32_e32 v21, v27, v4
	v_fmac_f32_e32 v25, v29, v39
	;; [unrolled: 1-line block ×4, first 2 shown]
	v_dual_fmac_f32 v10, v9, v35 :: v_dual_mul_f32 v9, v28, v4
	v_dual_add_f32 v2, v8, v11 :: v_dual_add_f32 v15, v34, v8
	v_sub_f32_e32 v26, v8, v11
	s_delay_alu instid0(VALU_DEP_3) | instskip(SKIP_1) | instid1(VALU_DEP_4)
	v_fma_f32 v9, v27, v5, -v9
	v_mul_f32_e32 v12, v30, v39
	v_add_f32_e32 v5, v15, v11
	s_delay_alu instid0(VALU_DEP_2)
	v_fma_f32 v28, v29, v40, -v12
	v_sub_f32_e32 v29, v3, v23
	v_sub_f32_e32 v27, v14, v16
	;; [unrolled: 1-line block ×3, first 2 shown]
	v_add_f32_e32 v24, v10, v22
	v_add_f32_e32 v8, v10, v33
	;; [unrolled: 1-line block ×3, first 2 shown]
	s_wait_dscnt 0x0
	v_add_f32_e32 v30, v7, v3
	v_fma_f32 v3, -0.5, v2, v34
	v_add_f32_e32 v15, v9, v28
	v_fma_f32 v2, -0.5, v24, v33
	v_sub_f32_e32 v33, v21, v25
	s_delay_alu instid0(VALU_DEP_4)
	v_dual_add_f32 v24, v32, v9 :: v_dual_fmamk_f32 v11, v13, 0xbf5db3d7, v3
	v_fmac_f32_e32 v3, 0x3f5db3d7, v13
	v_fma_f32 v13, -0.5, v15, v32
	v_add_f32_e32 v12, v14, v16
	v_sub_f32_e32 v34, v9, v28
	v_add_f32_e32 v15, v24, v28
	v_dual_add_f32 v4, v8, v22 :: v_dual_add_f32 v9, v30, v23
	v_fmamk_f32 v24, v33, 0xbf5db3d7, v13
	v_fmac_f32_e32 v13, 0x3f5db3d7, v33
	v_add_f32_e32 v22, v21, v25
	v_fma_f32 v7, -0.5, v10, v7
	v_dual_add_f32 v14, v6, v14 :: v_dual_add_f32 v21, v31, v21
	v_fma_f32 v6, -0.5, v12, v6
	s_delay_alu instid0(VALU_DEP_4) | instskip(NEXT) | instid1(VALU_DEP_4)
	v_fma_f32 v12, -0.5, v22, v31
	v_fmamk_f32 v22, v27, 0xbf5db3d7, v7
	s_delay_alu instid0(VALU_DEP_4)
	v_dual_fmac_f32 v7, 0x3f5db3d7, v27 :: v_dual_add_f32 v8, v14, v16
	v_add_f32_e32 v14, v21, v25
	v_fmamk_f32 v21, v29, 0x3f5db3d7, v6
	v_fmac_f32_e32 v6, 0xbf5db3d7, v29
	v_fmamk_f32 v23, v34, 0x3f5db3d7, v12
	v_fmac_f32_e32 v12, 0xbf5db3d7, v34
	v_fmamk_f32 v10, v26, 0x3f5db3d7, v2
	v_fmac_f32_e32 v2, 0xbf5db3d7, v26
	s_clause 0x8
	global_store_b64 v[17:18], v[8:9], off
	global_store_b64 v[17:18], v[6:7], off offset:3960
	global_store_b64 v[17:18], v[21:22], off offset:7920
	;; [unrolled: 1-line block ×8, first 2 shown]
.LBB0_21:
	s_nop 0
	s_sendmsg sendmsg(MSG_DEALLOC_VGPRS)
	s_endpgm
	.section	.rodata,"a",@progbits
	.p2align	6, 0x0
	.amdhsa_kernel fft_rtc_back_len1485_factors_3_5_11_3_3_wgs_165_tpt_165_sp_ip_CI_unitstride_sbrr_dirReg
		.amdhsa_group_segment_fixed_size 0
		.amdhsa_private_segment_fixed_size 0
		.amdhsa_kernarg_size 88
		.amdhsa_user_sgpr_count 2
		.amdhsa_user_sgpr_dispatch_ptr 0
		.amdhsa_user_sgpr_queue_ptr 0
		.amdhsa_user_sgpr_kernarg_segment_ptr 1
		.amdhsa_user_sgpr_dispatch_id 0
		.amdhsa_user_sgpr_private_segment_size 0
		.amdhsa_wavefront_size32 1
		.amdhsa_uses_dynamic_stack 0
		.amdhsa_enable_private_segment 0
		.amdhsa_system_sgpr_workgroup_id_x 1
		.amdhsa_system_sgpr_workgroup_id_y 0
		.amdhsa_system_sgpr_workgroup_id_z 0
		.amdhsa_system_sgpr_workgroup_info 0
		.amdhsa_system_vgpr_workitem_id 0
		.amdhsa_next_free_vgpr 125
		.amdhsa_next_free_sgpr 32
		.amdhsa_reserve_vcc 1
		.amdhsa_float_round_mode_32 0
		.amdhsa_float_round_mode_16_64 0
		.amdhsa_float_denorm_mode_32 3
		.amdhsa_float_denorm_mode_16_64 3
		.amdhsa_fp16_overflow 0
		.amdhsa_workgroup_processor_mode 1
		.amdhsa_memory_ordered 1
		.amdhsa_forward_progress 0
		.amdhsa_round_robin_scheduling 0
		.amdhsa_exception_fp_ieee_invalid_op 0
		.amdhsa_exception_fp_denorm_src 0
		.amdhsa_exception_fp_ieee_div_zero 0
		.amdhsa_exception_fp_ieee_overflow 0
		.amdhsa_exception_fp_ieee_underflow 0
		.amdhsa_exception_fp_ieee_inexact 0
		.amdhsa_exception_int_div_zero 0
	.end_amdhsa_kernel
	.text
.Lfunc_end0:
	.size	fft_rtc_back_len1485_factors_3_5_11_3_3_wgs_165_tpt_165_sp_ip_CI_unitstride_sbrr_dirReg, .Lfunc_end0-fft_rtc_back_len1485_factors_3_5_11_3_3_wgs_165_tpt_165_sp_ip_CI_unitstride_sbrr_dirReg
                                        ; -- End function
	.section	.AMDGPU.csdata,"",@progbits
; Kernel info:
; codeLenInByte = 7164
; NumSgprs: 34
; NumVgprs: 125
; ScratchSize: 0
; MemoryBound: 0
; FloatMode: 240
; IeeeMode: 1
; LDSByteSize: 0 bytes/workgroup (compile time only)
; SGPRBlocks: 4
; VGPRBlocks: 15
; NumSGPRsForWavesPerEU: 34
; NumVGPRsForWavesPerEU: 125
; Occupancy: 10
; WaveLimiterHint : 1
; COMPUTE_PGM_RSRC2:SCRATCH_EN: 0
; COMPUTE_PGM_RSRC2:USER_SGPR: 2
; COMPUTE_PGM_RSRC2:TRAP_HANDLER: 0
; COMPUTE_PGM_RSRC2:TGID_X_EN: 1
; COMPUTE_PGM_RSRC2:TGID_Y_EN: 0
; COMPUTE_PGM_RSRC2:TGID_Z_EN: 0
; COMPUTE_PGM_RSRC2:TIDIG_COMP_CNT: 0
	.text
	.p2alignl 7, 3214868480
	.fill 96, 4, 3214868480
	.type	__hip_cuid_e753a90124c7ea78,@object ; @__hip_cuid_e753a90124c7ea78
	.section	.bss,"aw",@nobits
	.globl	__hip_cuid_e753a90124c7ea78
__hip_cuid_e753a90124c7ea78:
	.byte	0                               ; 0x0
	.size	__hip_cuid_e753a90124c7ea78, 1

	.ident	"AMD clang version 19.0.0git (https://github.com/RadeonOpenCompute/llvm-project roc-6.4.0 25133 c7fe45cf4b819c5991fe208aaa96edf142730f1d)"
	.section	".note.GNU-stack","",@progbits
	.addrsig
	.addrsig_sym __hip_cuid_e753a90124c7ea78
	.amdgpu_metadata
---
amdhsa.kernels:
  - .args:
      - .actual_access:  read_only
        .address_space:  global
        .offset:         0
        .size:           8
        .value_kind:     global_buffer
      - .offset:         8
        .size:           8
        .value_kind:     by_value
      - .actual_access:  read_only
        .address_space:  global
        .offset:         16
        .size:           8
        .value_kind:     global_buffer
      - .actual_access:  read_only
        .address_space:  global
        .offset:         24
        .size:           8
        .value_kind:     global_buffer
      - .offset:         32
        .size:           8
        .value_kind:     by_value
      - .actual_access:  read_only
        .address_space:  global
        .offset:         40
        .size:           8
        .value_kind:     global_buffer
      - .actual_access:  read_only
        .address_space:  global
        .offset:         48
        .size:           8
        .value_kind:     global_buffer
      - .offset:         56
        .size:           4
        .value_kind:     by_value
      - .actual_access:  read_only
        .address_space:  global
        .offset:         64
        .size:           8
        .value_kind:     global_buffer
      - .actual_access:  read_only
        .address_space:  global
        .offset:         72
        .size:           8
        .value_kind:     global_buffer
      - .address_space:  global
        .offset:         80
        .size:           8
        .value_kind:     global_buffer
    .group_segment_fixed_size: 0
    .kernarg_segment_align: 8
    .kernarg_segment_size: 88
    .language:       OpenCL C
    .language_version:
      - 2
      - 0
    .max_flat_workgroup_size: 165
    .name:           fft_rtc_back_len1485_factors_3_5_11_3_3_wgs_165_tpt_165_sp_ip_CI_unitstride_sbrr_dirReg
    .private_segment_fixed_size: 0
    .sgpr_count:     34
    .sgpr_spill_count: 0
    .symbol:         fft_rtc_back_len1485_factors_3_5_11_3_3_wgs_165_tpt_165_sp_ip_CI_unitstride_sbrr_dirReg.kd
    .uniform_work_group_size: 1
    .uses_dynamic_stack: false
    .vgpr_count:     125
    .vgpr_spill_count: 0
    .wavefront_size: 32
    .workgroup_processor_mode: 1
amdhsa.target:   amdgcn-amd-amdhsa--gfx1201
amdhsa.version:
  - 1
  - 2
...

	.end_amdgpu_metadata
